;; amdgpu-corpus repo=ROCm/rocPRIM kind=compiled arch=gfx90a opt=O3
	.text
	.amdgcn_target "amdgcn-amd-amdhsa--gfx90a"
	.amdhsa_code_object_version 6
	.protected	_Z11test_globalPoPbPKjm ; -- Begin function _Z11test_globalPoPbPKjm
	.globl	_Z11test_globalPoPbPKjm
	.p2align	8
	.type	_Z11test_globalPoPbPKjm,@function
_Z11test_globalPoPbPKjm:                ; @_Z11test_globalPoPbPKjm
; %bb.0:
	s_load_dwordx8 s[8:15], s[4:5], 0x0
	s_add_u32 s0, s4, 32
	s_addc_u32 s1, s5, 0
	s_mov_b32 s7, 0
	v_mov_b32_e32 v9, 0
	s_waitcnt lgkmcnt(0)
	v_cvt_f32_u32_e32 v1, s14
	s_sub_i32 s2, 0, s14
	v_pk_mov_b32 v[6:7], s[8:9], s[8:9] op_sel:[0,1]
	v_mov_b32_e32 v10, 1
	v_rcp_iflag_f32_e32 v1, v1
	v_mul_f32_e32 v1, 0x4f7ffffe, v1
	v_cvt_u32_f32_e32 v2, v1
	v_mov_b32_e32 v1, s13
	v_mul_lo_u32 v3, s2, v2
	v_mul_hi_u32 v3, v2, v3
	v_add_u32_e32 v11, v2, v3
	s_branch .LBB0_2
.LBB0_1:                                ;   in Loop: Header=BB0_2 Depth=1
	s_or_b64 exec, exec, s[2:3]
	v_lshl_add_u32 v8, v2, 1, v2
	v_lshlrev_b64 v[4:5], 2, v[8:9]
	v_add_co_u32_e32 v4, vcc, s12, v4
	v_add_u32_e32 v12, 1, v8
	v_mov_b32_e32 v13, v9
	v_addc_co_u32_e32 v5, vcc, v1, v5, vcc
	v_lshlrev_b64 v[12:13], 2, v[12:13]
	v_add_co_u32_e32 v16, vcc, s12, v12
	v_add_u32_e32 v8, 2, v8
	v_addc_co_u32_e32 v17, vcc, v1, v13, vcc
	v_lshlrev_b64 v[12:13], 2, v[8:9]
	v_add_co_u32_e32 v18, vcc, s12, v12
	v_addc_co_u32_e32 v19, vcc, v1, v13, vcc
	global_load_dword v14, v[4:5], off
	global_load_dword v13, v[16:17], off
	;; [unrolled: 1-line block ×3, first 2 shown]
	v_mov_b32_e32 v15, v2
	s_add_i32 s7, s7, 1
	s_cmpk_lg_i32 s7, 0x3e8
	s_waitcnt vmcnt(0)
	;;#ASMSTART
	global_store_dwordx4 v[6:7], v[12:15] off	
s_waitcnt vmcnt(0)
	;;#ASMEND
	s_cbranch_scc0 .LBB0_10
.LBB0_2:                                ; =>This Inner Loop Header: Depth=1
	;;#ASMSTART
	global_load_dwordx4 v[2:5], v[6:7] off glc	
s_waitcnt vmcnt(0)
	;;#ASMEND
	v_lshl_add_u32 v8, v5, 1, v5
	v_lshlrev_b64 v[12:13], 2, v[8:9]
	v_add_co_u32_e32 v12, vcc, s12, v12
	v_addc_co_u32_e32 v13, vcc, v1, v13, vcc
	global_load_dword v5, v[12:13], off
	s_waitcnt vmcnt(0)
	v_cmp_ne_u32_e64 s[2:3], v5, v4
	v_cmp_eq_u32_e32 vcc, v5, v4
	s_and_saveexec_b64 s[4:5], vcc
	s_cbranch_execz .LBB0_6
; %bb.3:                                ;   in Loop: Header=BB0_2 Depth=1
	v_add_u32_e32 v4, 1, v8
	v_mov_b32_e32 v5, v9
	v_lshlrev_b64 v[4:5], 2, v[4:5]
	v_add_co_u32_e32 v4, vcc, s12, v4
	v_addc_co_u32_e32 v5, vcc, v1, v5, vcc
	global_load_dword v4, v[4:5], off
	s_waitcnt vmcnt(0)
	v_cmp_ne_u32_e64 s[8:9], v4, v3
	v_cmp_eq_u32_e32 vcc, v4, v3
	s_and_saveexec_b64 s[16:17], vcc
	s_cbranch_execz .LBB0_5
; %bb.4:                                ;   in Loop: Header=BB0_2 Depth=1
	v_add_u32_e32 v8, 2, v8
	v_lshlrev_b64 v[4:5], 2, v[8:9]
	v_add_co_u32_e32 v4, vcc, s12, v4
	v_addc_co_u32_e32 v5, vcc, v1, v5, vcc
	global_load_dword v3, v[4:5], off
	s_andn2_b64 s[8:9], s[8:9], exec
	s_waitcnt vmcnt(0)
	v_cmp_ne_u32_e32 vcc, v3, v2
	s_and_b64 s[18:19], vcc, exec
	s_or_b64 s[8:9], s[8:9], s[18:19]
.LBB0_5:                                ;   in Loop: Header=BB0_2 Depth=1
	s_or_b64 exec, exec, s[16:17]
	s_andn2_b64 s[2:3], s[2:3], exec
	s_and_b64 s[8:9], s[8:9], exec
	s_or_b64 s[2:3], s[2:3], s[8:9]
.LBB0_6:                                ;   in Loop: Header=BB0_2 Depth=1
	s_or_b64 exec, exec, s[4:5]
	s_and_saveexec_b64 s[4:5], s[2:3]
	s_cbranch_execz .LBB0_8
; %bb.7:                                ;   in Loop: Header=BB0_2 Depth=1
	global_store_byte v9, v10, s[10:11]
.LBB0_8:                                ;   in Loop: Header=BB0_2 Depth=1
	s_or_b64 exec, exec, s[4:5]
	s_sleep 63
	s_load_dword s2, s[0:1], 0xc
	s_waitcnt lgkmcnt(0)
	s_and_b32 s2, s2, 0xffff
	s_mul_i32 s2, s6, s2
	s_add_i32 s2, s2, s7
	v_add_u32_e32 v8, s2, v0
	v_cmp_le_u64_e32 vcc, s[14:15], v[8:9]
	v_pk_mov_b32 v[2:3], v[8:9], v[8:9] op_sel:[0,1]
	s_and_saveexec_b64 s[2:3], vcc
	s_cbranch_execz .LBB0_1
; %bb.9:                                ;   in Loop: Header=BB0_2 Depth=1
	v_mul_hi_u32 v2, v8, v11
	v_mul_lo_u32 v2, v2, s14
	v_sub_u32_e32 v2, v8, v2
	v_subrev_u32_e32 v3, s14, v2
	v_cmp_le_u32_e32 vcc, s14, v2
	v_cndmask_b32_e32 v2, v2, v3, vcc
	v_subrev_u32_e32 v3, s14, v2
	v_cmp_le_u32_e32 vcc, s14, v2
	v_cndmask_b32_e32 v2, v2, v3, vcc
	s_branch .LBB0_1
.LBB0_10:
	s_endpgm
	.section	.rodata,"a",@progbits
	.p2align	6, 0x0
	.amdhsa_kernel _Z11test_globalPoPbPKjm
		.amdhsa_group_segment_fixed_size 0
		.amdhsa_private_segment_fixed_size 0
		.amdhsa_kernarg_size 288
		.amdhsa_user_sgpr_count 6
		.amdhsa_user_sgpr_private_segment_buffer 1
		.amdhsa_user_sgpr_dispatch_ptr 0
		.amdhsa_user_sgpr_queue_ptr 0
		.amdhsa_user_sgpr_kernarg_segment_ptr 1
		.amdhsa_user_sgpr_dispatch_id 0
		.amdhsa_user_sgpr_flat_scratch_init 0
		.amdhsa_user_sgpr_kernarg_preload_length 0
		.amdhsa_user_sgpr_kernarg_preload_offset 0
		.amdhsa_user_sgpr_private_segment_size 0
		.amdhsa_uses_dynamic_stack 0
		.amdhsa_system_sgpr_private_segment_wavefront_offset 0
		.amdhsa_system_sgpr_workgroup_id_x 1
		.amdhsa_system_sgpr_workgroup_id_y 0
		.amdhsa_system_sgpr_workgroup_id_z 0
		.amdhsa_system_sgpr_workgroup_info 0
		.amdhsa_system_vgpr_workitem_id 0
		.amdhsa_next_free_vgpr 20
		.amdhsa_next_free_sgpr 20
		.amdhsa_accum_offset 20
		.amdhsa_reserve_vcc 1
		.amdhsa_reserve_flat_scratch 0
		.amdhsa_float_round_mode_32 0
		.amdhsa_float_round_mode_16_64 0
		.amdhsa_float_denorm_mode_32 3
		.amdhsa_float_denorm_mode_16_64 3
		.amdhsa_dx10_clamp 1
		.amdhsa_ieee_mode 1
		.amdhsa_fp16_overflow 0
		.amdhsa_tg_split 0
		.amdhsa_exception_fp_ieee_invalid_op 0
		.amdhsa_exception_fp_denorm_src 0
		.amdhsa_exception_fp_ieee_div_zero 0
		.amdhsa_exception_fp_ieee_overflow 0
		.amdhsa_exception_fp_ieee_underflow 0
		.amdhsa_exception_fp_ieee_inexact 0
		.amdhsa_exception_int_div_zero 0
	.end_amdhsa_kernel
	.text
.Lfunc_end0:
	.size	_Z11test_globalPoPbPKjm, .Lfunc_end0-_Z11test_globalPoPbPKjm
                                        ; -- End function
	.section	.AMDGPU.csdata,"",@progbits
; Kernel info:
; codeLenInByte = 548
; NumSgprs: 24
; NumVgprs: 20
; NumAgprs: 0
; TotalNumVgprs: 20
; ScratchSize: 0
; MemoryBound: 0
; FloatMode: 240
; IeeeMode: 1
; LDSByteSize: 0 bytes/workgroup (compile time only)
; SGPRBlocks: 2
; VGPRBlocks: 2
; NumSGPRsForWavesPerEU: 24
; NumVGPRsForWavesPerEU: 20
; AccumOffset: 20
; Occupancy: 8
; WaveLimiterHint : 0
; COMPUTE_PGM_RSRC2:SCRATCH_EN: 0
; COMPUTE_PGM_RSRC2:USER_SGPR: 6
; COMPUTE_PGM_RSRC2:TRAP_HANDLER: 0
; COMPUTE_PGM_RSRC2:TGID_X_EN: 1
; COMPUTE_PGM_RSRC2:TGID_Y_EN: 0
; COMPUTE_PGM_RSRC2:TGID_Z_EN: 0
; COMPUTE_PGM_RSRC2:TIDIG_COMP_CNT: 0
; COMPUTE_PGM_RSRC3_GFX90A:ACCUM_OFFSET: 4
; COMPUTE_PGM_RSRC3_GFX90A:TG_SPLIT: 0
	.text
	.protected	_Z11test_sharedPbPKjm   ; -- Begin function _Z11test_sharedPbPKjm
	.globl	_Z11test_sharedPbPKjm
	.p2align	8
	.type	_Z11test_sharedPbPKjm,@function
_Z11test_sharedPbPKjm:                  ; @_Z11test_sharedPbPKjm
; %bb.0:
	s_mov_b32 s7, 0
	v_cmp_eq_u32_e32 vcc, 0, v0
	s_and_saveexec_b64 s[0:1], vcc
	s_cbranch_execz .LBB1_2
; %bb.1:
	v_mov_b32_e32 v2, 0
	v_mov_b32_e32 v3, v2
	;; [unrolled: 1-line block ×4, first 2 shown]
	ds_write_b128 v2, v[2:5]
.LBB1_2:
	s_or_b64 exec, exec, s[0:1]
	s_load_dwordx2 s[8:9], s[4:5], 0x10
	s_load_dwordx4 s[0:3], s[4:5], 0x0
	s_add_u32 s4, s4, 24
	s_addc_u32 s5, s5, 0
	v_mov_b32_e32 v7, 0
	s_waitcnt lgkmcnt(0)
	v_cvt_f32_u32_e32 v1, s8
	v_mov_b32_e32 v8, 1
	s_barrier
	v_rcp_iflag_f32_e32 v1, v1
	v_mul_f32_e32 v1, 0x4f7ffffe, v1
	v_cvt_u32_f32_e32 v2, v1
	v_mov_b32_e32 v1, s3
	s_sub_i32 s3, 0, s8
	v_mul_lo_u32 v3, s3, v2
	v_mul_hi_u32 v3, v2, v3
	v_add_u32_e32 v9, v2, v3
	s_branch .LBB1_4
.LBB1_3:                                ;   in Loop: Header=BB1_4 Depth=1
	s_or_b64 exec, exec, s[10:11]
	v_lshl_add_u32 v6, v2, 1, v2
	v_lshlrev_b64 v[4:5], 2, v[6:7]
	v_add_co_u32_e32 v4, vcc, s2, v4
	v_add_u32_e32 v10, 1, v6
	v_mov_b32_e32 v11, v7
	v_addc_co_u32_e32 v5, vcc, v1, v5, vcc
	v_lshlrev_b64 v[10:11], 2, v[10:11]
	v_add_co_u32_e32 v14, vcc, s2, v10
	v_add_u32_e32 v6, 2, v6
	v_addc_co_u32_e32 v15, vcc, v1, v11, vcc
	v_lshlrev_b64 v[10:11], 2, v[6:7]
	v_add_co_u32_e32 v16, vcc, s2, v10
	v_addc_co_u32_e32 v17, vcc, v1, v11, vcc
	global_load_dword v12, v[4:5], off
	global_load_dword v11, v[14:15], off
	;; [unrolled: 1-line block ×3, first 2 shown]
	v_mov_b32_e32 v13, v2
	s_add_i32 s7, s7, 1
	s_cmpk_lg_i32 s7, 0x3e8
	s_waitcnt vmcnt(0)
	;;#ASMSTART
	ds_write_b128 v7, v[10:13] 	
s_waitcnt lgkmcnt(0)
	;;#ASMEND
	s_cbranch_scc0 .LBB1_12
.LBB1_4:                                ; =>This Inner Loop Header: Depth=1
	;;#ASMSTART
	ds_read_b128 v[2:5], v7 	
s_waitcnt lgkmcnt(0)
	;;#ASMEND
	v_lshl_add_u32 v6, v5, 1, v5
	v_lshlrev_b64 v[10:11], 2, v[6:7]
	v_add_co_u32_e32 v10, vcc, s2, v10
	v_addc_co_u32_e32 v11, vcc, v1, v11, vcc
	global_load_dword v5, v[10:11], off
	s_waitcnt vmcnt(0)
	v_cmp_ne_u32_e64 s[10:11], v5, v4
	v_cmp_eq_u32_e32 vcc, v5, v4
	s_and_saveexec_b64 s[12:13], vcc
	s_cbranch_execz .LBB1_8
; %bb.5:                                ;   in Loop: Header=BB1_4 Depth=1
	v_add_u32_e32 v4, 1, v6
	v_mov_b32_e32 v5, v7
	v_lshlrev_b64 v[4:5], 2, v[4:5]
	v_add_co_u32_e32 v4, vcc, s2, v4
	v_addc_co_u32_e32 v5, vcc, v1, v5, vcc
	global_load_dword v4, v[4:5], off
	s_waitcnt vmcnt(0)
	v_cmp_ne_u32_e64 s[14:15], v4, v3
	v_cmp_eq_u32_e32 vcc, v4, v3
	s_and_saveexec_b64 s[16:17], vcc
	s_cbranch_execz .LBB1_7
; %bb.6:                                ;   in Loop: Header=BB1_4 Depth=1
	v_add_u32_e32 v6, 2, v6
	v_lshlrev_b64 v[4:5], 2, v[6:7]
	v_add_co_u32_e32 v4, vcc, s2, v4
	v_addc_co_u32_e32 v5, vcc, v1, v5, vcc
	global_load_dword v3, v[4:5], off
	s_andn2_b64 s[14:15], s[14:15], exec
	s_waitcnt vmcnt(0)
	v_cmp_ne_u32_e32 vcc, v3, v2
	s_and_b64 s[18:19], vcc, exec
	s_or_b64 s[14:15], s[14:15], s[18:19]
.LBB1_7:                                ;   in Loop: Header=BB1_4 Depth=1
	s_or_b64 exec, exec, s[16:17]
	s_andn2_b64 s[10:11], s[10:11], exec
	s_and_b64 s[14:15], s[14:15], exec
	s_or_b64 s[10:11], s[10:11], s[14:15]
.LBB1_8:                                ;   in Loop: Header=BB1_4 Depth=1
	s_or_b64 exec, exec, s[12:13]
	s_and_saveexec_b64 s[12:13], s[10:11]
	s_cbranch_execz .LBB1_10
; %bb.9:                                ;   in Loop: Header=BB1_4 Depth=1
	global_store_byte v7, v8, s[0:1]
.LBB1_10:                               ;   in Loop: Header=BB1_4 Depth=1
	s_or_b64 exec, exec, s[12:13]
	s_load_dword s3, s[4:5], 0xc
	s_waitcnt lgkmcnt(0)
	s_and_b32 s3, s3, 0xffff
	s_mul_i32 s3, s6, s3
	s_add_i32 s3, s3, s7
	v_add_u32_e32 v6, s3, v0
	v_cmp_le_u64_e32 vcc, s[8:9], v[6:7]
	v_pk_mov_b32 v[2:3], v[6:7], v[6:7] op_sel:[0,1]
	s_and_saveexec_b64 s[10:11], vcc
	s_cbranch_execz .LBB1_3
; %bb.11:                               ;   in Loop: Header=BB1_4 Depth=1
	v_mul_hi_u32 v2, v6, v9
	v_mul_lo_u32 v2, v2, s8
	v_sub_u32_e32 v2, v6, v2
	v_subrev_u32_e32 v3, s8, v2
	v_cmp_le_u32_e32 vcc, s8, v2
	v_cndmask_b32_e32 v2, v2, v3, vcc
	v_subrev_u32_e32 v3, s8, v2
	v_cmp_le_u32_e32 vcc, s8, v2
	v_cndmask_b32_e32 v2, v2, v3, vcc
	s_branch .LBB1_3
.LBB1_12:
	s_endpgm
	.section	.rodata,"a",@progbits
	.p2align	6, 0x0
	.amdhsa_kernel _Z11test_sharedPbPKjm
		.amdhsa_group_segment_fixed_size 16
		.amdhsa_private_segment_fixed_size 0
		.amdhsa_kernarg_size 280
		.amdhsa_user_sgpr_count 6
		.amdhsa_user_sgpr_private_segment_buffer 1
		.amdhsa_user_sgpr_dispatch_ptr 0
		.amdhsa_user_sgpr_queue_ptr 0
		.amdhsa_user_sgpr_kernarg_segment_ptr 1
		.amdhsa_user_sgpr_dispatch_id 0
		.amdhsa_user_sgpr_flat_scratch_init 0
		.amdhsa_user_sgpr_kernarg_preload_length 0
		.amdhsa_user_sgpr_kernarg_preload_offset 0
		.amdhsa_user_sgpr_private_segment_size 0
		.amdhsa_uses_dynamic_stack 0
		.amdhsa_system_sgpr_private_segment_wavefront_offset 0
		.amdhsa_system_sgpr_workgroup_id_x 1
		.amdhsa_system_sgpr_workgroup_id_y 0
		.amdhsa_system_sgpr_workgroup_id_z 0
		.amdhsa_system_sgpr_workgroup_info 0
		.amdhsa_system_vgpr_workitem_id 0
		.amdhsa_next_free_vgpr 18
		.amdhsa_next_free_sgpr 20
		.amdhsa_accum_offset 20
		.amdhsa_reserve_vcc 1
		.amdhsa_reserve_flat_scratch 0
		.amdhsa_float_round_mode_32 0
		.amdhsa_float_round_mode_16_64 0
		.amdhsa_float_denorm_mode_32 3
		.amdhsa_float_denorm_mode_16_64 3
		.amdhsa_dx10_clamp 1
		.amdhsa_ieee_mode 1
		.amdhsa_fp16_overflow 0
		.amdhsa_tg_split 0
		.amdhsa_exception_fp_ieee_invalid_op 0
		.amdhsa_exception_fp_denorm_src 0
		.amdhsa_exception_fp_ieee_div_zero 0
		.amdhsa_exception_fp_ieee_overflow 0
		.amdhsa_exception_fp_ieee_underflow 0
		.amdhsa_exception_fp_ieee_inexact 0
		.amdhsa_exception_int_div_zero 0
	.end_amdhsa_kernel
	.text
.Lfunc_end1:
	.size	_Z11test_sharedPbPKjm, .Lfunc_end1-_Z11test_sharedPbPKjm
                                        ; -- End function
	.section	.AMDGPU.csdata,"",@progbits
; Kernel info:
; codeLenInByte = 588
; NumSgprs: 24
; NumVgprs: 18
; NumAgprs: 0
; TotalNumVgprs: 18
; ScratchSize: 0
; MemoryBound: 0
; FloatMode: 240
; IeeeMode: 1
; LDSByteSize: 16 bytes/workgroup (compile time only)
; SGPRBlocks: 2
; VGPRBlocks: 2
; NumSGPRsForWavesPerEU: 24
; NumVGPRsForWavesPerEU: 18
; AccumOffset: 20
; Occupancy: 8
; WaveLimiterHint : 0
; COMPUTE_PGM_RSRC2:SCRATCH_EN: 0
; COMPUTE_PGM_RSRC2:USER_SGPR: 6
; COMPUTE_PGM_RSRC2:TRAP_HANDLER: 0
; COMPUTE_PGM_RSRC2:TGID_X_EN: 1
; COMPUTE_PGM_RSRC2:TGID_Y_EN: 0
; COMPUTE_PGM_RSRC2:TGID_Z_EN: 0
; COMPUTE_PGM_RSRC2:TIDIG_COMP_CNT: 0
; COMPUTE_PGM_RSRC3_GFX90A:ACCUM_OFFSET: 4
; COMPUTE_PGM_RSRC3_GFX90A:TG_SPLIT: 0
	.text
	.protected	_Z9test_flatPoPbPKjm    ; -- Begin function _Z9test_flatPoPbPKjm
	.globl	_Z9test_flatPoPbPKjm
	.p2align	8
	.type	_Z9test_flatPoPbPKjm,@function
_Z9test_flatPoPbPKjm:                   ; @_Z9test_flatPoPbPKjm
; %bb.0:
	s_mov_b32 s16, 0
	v_cmp_eq_u32_e32 vcc, 0, v0
	s_and_saveexec_b64 s[0:1], vcc
	s_cbranch_execz .LBB2_2
; %bb.1:
	v_mov_b32_e32 v2, 0
	v_mov_b32_e32 v3, v2
	v_mov_b32_e32 v4, v2
	v_mov_b32_e32 v5, v2
	ds_write_b128 v2, v[2:5]
.LBB2_2:
	s_or_b64 exec, exec, s[0:1]
	s_load_dwordx8 s[8:15], s[4:5], 0x0
	s_add_u32 s4, s4, 32
	s_addc_u32 s5, s5, 0
	s_mov_b64 s[18:19], 1
	s_mov_b64 s[20:21], src_shared_base
	s_waitcnt lgkmcnt(0)
	v_cvt_f32_u32_e32 v2, s14
	v_cvt_f32_u32_e32 v3, s15
	v_mov_b32_e32 v1, s13
	s_mov_b64 s[22:23], src_private_base
	v_mov_b32_e32 v7, 0
	v_mac_f32_e32 v2, 0x4f800000, v3
	v_rcp_f32_e32 v2, v2
	v_cvt_f32_u32_e32 v3, s14
	s_sub_i32 s7, 0, s14
	v_mov_b32_e32 v15, 1
	v_mul_f32_e32 v2, 0x5f7ffffc, v2
	v_rcp_iflag_f32_e32 v3, v3
	v_mul_f32_e32 v4, 0x2f800000, v2
	v_trunc_f32_e32 v4, v4
	v_mac_f32_e32 v2, 0xcf800000, v4
	v_cvt_u32_f32_e32 v12, v2
	v_mul_f32_e32 v2, 0x4f7ffffe, v3
	v_cvt_u32_f32_e32 v13, v4
	v_cvt_u32_f32_e32 v14, v2
	s_barrier
	s_branch .LBB2_4
.LBB2_3:                                ;   in Loop: Header=BB2_4 Depth=1
	s_add_u32 s18, s18, 2
	s_addc_u32 s19, s19, 0
	s_cmpk_lg_i32 s18, 0x7d1
	v_add_u32_e32 v0, 1, v0
	s_cbranch_scc0 .LBB2_36
.LBB2_4:                                ; =>This Inner Loop Header: Depth=1
	s_add_u32 s24, s18, -1
	s_addc_u32 s25, s19, -1
	s_or_b64 s[0:1], s[24:25], s[14:15]
	s_mov_b32 s17, s1
	s_cmp_lg_u64 s[16:17], 0
	s_cbranch_scc0 .LBB2_11
; %bb.5:                                ;   in Loop: Header=BB2_4 Depth=1
	s_sub_u32 s0, 0, s14
	v_readfirstlane_b32 s2, v12
	v_readfirstlane_b32 s20, v13
	s_subb_u32 s1, 0, s15
	s_mul_hi_u32 s17, s0, s2
	s_mul_i32 s22, s0, s20
	s_mul_i32 s3, s1, s2
	s_add_i32 s17, s17, s22
	s_add_i32 s17, s17, s3
	s_mul_i32 s26, s0, s2
	s_mul_hi_u32 s3, s2, s17
	s_mul_i32 s22, s2, s17
	s_mul_hi_u32 s2, s2, s26
	s_add_u32 s2, s2, s22
	s_addc_u32 s3, 0, s3
	s_mul_hi_u32 s27, s20, s26
	s_mul_i32 s26, s20, s26
	s_add_u32 s2, s2, s26
	s_mul_hi_u32 s22, s20, s17
	s_addc_u32 s2, s3, s27
	s_addc_u32 s3, s22, 0
	s_mul_i32 s17, s20, s17
	s_add_u32 s2, s2, s17
	s_addc_u32 s3, 0, s3
	v_add_co_u32_e32 v2, vcc, s2, v12
	s_cmp_lg_u64 vcc, 0
	s_addc_u32 s2, s20, s3
	v_readfirstlane_b32 s17, v2
	s_mul_i32 s3, s0, s2
	s_mul_hi_u32 s20, s0, s17
	s_add_i32 s3, s20, s3
	s_mul_i32 s1, s1, s17
	s_add_i32 s3, s3, s1
	s_mul_i32 s0, s0, s17
	s_mul_hi_u32 s20, s2, s0
	s_mul_i32 s22, s2, s0
	s_mul_i32 s27, s17, s3
	s_mul_hi_u32 s0, s17, s0
	s_mul_hi_u32 s26, s17, s3
	s_add_u32 s0, s0, s27
	s_addc_u32 s17, 0, s26
	s_add_u32 s0, s0, s22
	s_mul_hi_u32 s1, s2, s3
	s_addc_u32 s0, s17, s20
	s_addc_u32 s1, s1, 0
	s_mul_i32 s3, s2, s3
	s_add_u32 s0, s0, s3
	s_addc_u32 s1, 0, s1
	v_add_co_u32_e32 v2, vcc, s0, v2
	s_cmp_lg_u64 vcc, 0
	s_addc_u32 s0, s2, s1
	v_readfirstlane_b32 s3, v2
	s_mul_i32 s2, s24, s0
	s_mul_hi_u32 s17, s24, s3
	s_mul_hi_u32 s1, s24, s0
	s_add_u32 s2, s17, s2
	s_addc_u32 s1, 0, s1
	s_mul_hi_u32 s20, s25, s3
	s_mul_i32 s3, s25, s3
	s_add_u32 s2, s2, s3
	s_mul_hi_u32 s17, s25, s0
	s_addc_u32 s1, s1, s20
	s_addc_u32 s2, s17, 0
	s_mul_i32 s0, s25, s0
	s_add_u32 s0, s1, s0
	s_addc_u32 s1, 0, s2
	s_mul_i32 s1, s14, s1
	s_mul_hi_u32 s2, s14, s0
	s_add_i32 s1, s2, s1
	s_mul_i32 s2, s15, s0
	s_mul_i32 s0, s14, s0
	s_add_i32 s17, s1, s2
	v_mov_b32_e32 v2, s0
	s_sub_i32 s1, s25, s17
	v_sub_co_u32_e32 v2, vcc, s24, v2
	s_cmp_lg_u64 vcc, 0
	s_subb_u32 s20, s1, s15
	v_subrev_co_u32_e64 v3, s[0:1], s14, v2
	s_cmp_lg_u64 s[0:1], 0
	s_subb_u32 s22, s20, 0
	s_cmp_ge_u32 s22, s15
	s_cselect_b32 s26, -1, 0
	v_cmp_le_u32_e64 s[2:3], s14, v3
	s_cmp_eq_u32 s22, s15
	v_cndmask_b32_e64 v4, 0, -1, s[2:3]
	v_mov_b32_e32 v5, s26
	s_cselect_b64 s[2:3], -1, 0
	s_cmp_lg_u64 s[0:1], 0
	v_cndmask_b32_e64 v4, v5, v4, s[2:3]
	s_subb_u32 s2, s20, s15
	v_subrev_co_u32_e64 v5, s[0:1], s14, v3
	s_cmp_lg_u64 s[0:1], 0
	s_subb_u32 s2, s2, 0
	v_cmp_ne_u32_e64 s[0:1], 0, v4
	v_cndmask_b32_e64 v4, v3, v5, s[0:1]
	v_mov_b32_e32 v3, s22
	v_mov_b32_e32 v5, s2
	s_cmp_lg_u64 vcc, 0
	v_cndmask_b32_e64 v3, v3, v5, s[0:1]
	s_subb_u32 s0, s25, s17
	s_cmp_ge_u32 s0, s15
	s_cselect_b32 s1, -1, 0
	v_cmp_le_u32_e32 vcc, s14, v2
	s_cmp_eq_u32 s0, s15
	v_cndmask_b32_e64 v5, 0, -1, vcc
	v_mov_b32_e32 v6, s1
	s_cselect_b64 vcc, -1, 0
	v_cndmask_b32_e32 v5, v6, v5, vcc
	v_mov_b32_e32 v6, s0
	v_cmp_ne_u32_e32 vcc, 0, v5
	v_cndmask_b32_e32 v3, v6, v3, vcc
	v_cndmask_b32_e32 v2, v2, v4, vcc
	s_cbranch_execnz .LBB2_7
.LBB2_6:                                ;   in Loop: Header=BB2_4 Depth=1
	v_readfirstlane_b32 s0, v14
	s_mul_i32 s1, s7, s0
	s_mul_hi_u32 s1, s0, s1
	s_add_i32 s0, s0, s1
	s_mul_hi_u32 s0, s24, s0
	s_mul_i32 s0, s0, s14
	s_sub_i32 s0, s24, s0
	s_sub_i32 s1, s0, s14
	s_cmp_ge_u32 s0, s14
	s_cselect_b32 s0, s1, s0
	s_sub_i32 s1, s0, s14
	s_cmp_ge_u32 s0, s14
	s_cselect_b32 s0, s1, s0
	s_mov_b32 s1, s16
	v_pk_mov_b32 v[2:3], s[0:1], s[0:1] op_sel:[0,1]
.LBB2_7:                                ;   in Loop: Header=BB2_4 Depth=1
	v_lshlrev_b64 v[2:3], 2, v[2:3]
	v_add_co_u32_e32 v2, vcc, s12, v2
	v_addc_co_u32_e32 v3, vcc, v1, v3, vcc
	global_load_dword v2, v[2:3], off
	s_waitcnt vmcnt(0)
	v_readfirstlane_b32 s0, v2
	s_bitcmp0_b32 s0, 0
	s_cselect_b32 s1, s9, s21
	s_cselect_b32 s0, s8, 0
	s_cmp_eq_u32 s1, s21
	s_cselect_b64 s[2:3], -1, 0
	s_andn2_b64 vcc, exec, s[2:3]
	s_cbranch_vccz .LBB2_10
; %bb.8:                                ;   in Loop: Header=BB2_4 Depth=1
	s_cmp_eq_u32 s1, s23
	s_cselect_b64 s[2:3], -1, 0
	s_andn2_b64 vcc, exec, s[2:3]
	s_cbranch_vccz .LBB2_12
; %bb.9:                                ;   in Loop: Header=BB2_4 Depth=1
	v_pk_mov_b32 v[2:3], s[0:1], s[0:1] op_sel:[0,1]
	;;#ASMSTART
	global_load_dwordx4 v[2:5], v[2:3] off glc	
s_waitcnt vmcnt(0)
	;;#ASMEND
	s_cbranch_execz .LBB2_13
	s_branch .LBB2_14
.LBB2_10:                               ;   in Loop: Header=BB2_4 Depth=1
                                        ; implicit-def: $vgpr5
	s_branch .LBB2_15
.LBB2_11:                               ;   in Loop: Header=BB2_4 Depth=1
                                        ; implicit-def: $vgpr2_vgpr3
	s_branch .LBB2_6
.LBB2_12:                               ;   in Loop: Header=BB2_4 Depth=1
                                        ; implicit-def: $vgpr5
.LBB2_13:                               ;   in Loop: Header=BB2_4 Depth=1
	v_pk_mov_b32 v[2:3], s[0:1], s[0:1] op_sel:[0,1]
	;;#ASMSTART
	flat_load_dwordx4 v[2:5], v[2:3] glc	
s_waitcnt vmcnt(0)
	;;#ASMEND
.LBB2_14:                               ;   in Loop: Header=BB2_4 Depth=1
	s_cbranch_execnz .LBB2_16
.LBB2_15:                               ;   in Loop: Header=BB2_4 Depth=1
	s_cmp_lg_u64 s[0:1], 0
	s_cselect_b32 s0, s0, -1
	v_mov_b32_e32 v2, s0
	;;#ASMSTART
	ds_read_b128 v[2:5], v2 	
s_waitcnt lgkmcnt(0)
	;;#ASMEND
.LBB2_16:                               ;   in Loop: Header=BB2_4 Depth=1
	v_lshl_add_u32 v6, v5, 1, v5
	v_lshlrev_b64 v[8:9], 2, v[6:7]
	v_add_co_u32_e32 v8, vcc, s12, v8
	v_addc_co_u32_e32 v9, vcc, v1, v9, vcc
	global_load_dword v5, v[8:9], off
	s_waitcnt vmcnt(0)
	v_cmp_ne_u32_e64 s[0:1], v5, v4
	v_cmp_eq_u32_e32 vcc, v5, v4
	s_and_saveexec_b64 s[2:3], vcc
	s_cbranch_execz .LBB2_20
; %bb.17:                               ;   in Loop: Header=BB2_4 Depth=1
	v_add_u32_e32 v4, 1, v6
	v_mov_b32_e32 v5, v7
	v_lshlrev_b64 v[4:5], 2, v[4:5]
	v_add_co_u32_e32 v4, vcc, s12, v4
	v_addc_co_u32_e32 v5, vcc, v1, v5, vcc
	global_load_dword v4, v[4:5], off
	s_waitcnt vmcnt(0)
	v_cmp_ne_u32_e64 s[24:25], v4, v3
	v_cmp_eq_u32_e32 vcc, v4, v3
	s_and_saveexec_b64 s[26:27], vcc
	s_cbranch_execz .LBB2_19
; %bb.18:                               ;   in Loop: Header=BB2_4 Depth=1
	v_add_u32_e32 v6, 2, v6
	v_lshlrev_b64 v[4:5], 2, v[6:7]
	v_mov_b32_e32 v3, s13
	v_add_co_u32_e32 v4, vcc, s12, v4
	v_addc_co_u32_e32 v5, vcc, v3, v5, vcc
	global_load_dword v3, v[4:5], off
	s_andn2_b64 s[24:25], s[24:25], exec
	s_waitcnt vmcnt(0)
	v_cmp_ne_u32_e32 vcc, v3, v2
	s_and_b64 s[28:29], vcc, exec
	s_or_b64 s[24:25], s[24:25], s[28:29]
.LBB2_19:                               ;   in Loop: Header=BB2_4 Depth=1
	s_or_b64 exec, exec, s[26:27]
	s_andn2_b64 s[0:1], s[0:1], exec
	s_and_b64 s[24:25], s[24:25], exec
	s_or_b64 s[0:1], s[0:1], s[24:25]
.LBB2_20:                               ;   in Loop: Header=BB2_4 Depth=1
	s_or_b64 exec, exec, s[2:3]
	s_and_saveexec_b64 s[2:3], s[0:1]
	s_cbranch_execz .LBB2_22
; %bb.21:                               ;   in Loop: Header=BB2_4 Depth=1
	global_store_byte v7, v15, s[10:11]
.LBB2_22:                               ;   in Loop: Header=BB2_4 Depth=1
	s_or_b64 exec, exec, s[2:3]
	s_load_dword s0, s[4:5], 0xc
	s_waitcnt lgkmcnt(0)
	s_and_b32 s0, s0, 0xffff
	s_mul_i32 s0, s6, s0
	v_add_u32_e32 v6, s0, v0
	v_cmp_le_u64_e32 vcc, s[14:15], v[6:7]
	v_pk_mov_b32 v[8:9], v[6:7], v[6:7] op_sel:[0,1]
	s_and_saveexec_b64 s[0:1], vcc
	s_cbranch_execz .LBB2_24
; %bb.23:                               ;   in Loop: Header=BB2_4 Depth=1
	v_mul_lo_u32 v2, s7, v14
	v_mul_hi_u32 v2, v14, v2
	v_add_u32_e32 v2, v14, v2
	v_mul_hi_u32 v2, v6, v2
	v_mul_lo_u32 v2, v2, s14
	v_sub_u32_e32 v2, v6, v2
	v_subrev_u32_e32 v3, s14, v2
	v_cmp_le_u32_e32 vcc, s14, v2
	v_cndmask_b32_e32 v2, v2, v3, vcc
	v_subrev_u32_e32 v3, s14, v2
	v_cmp_le_u32_e32 vcc, s14, v2
	v_cndmask_b32_e32 v8, v2, v3, vcc
.LBB2_24:                               ;   in Loop: Header=BB2_4 Depth=1
	s_or_b64 exec, exec, s[0:1]
	v_lshl_add_u32 v6, v8, 1, v8
	v_lshlrev_b64 v[2:3], 2, v[6:7]
	v_mov_b32_e32 v4, s13
	v_add_co_u32_e32 v10, vcc, s12, v2
	v_addc_co_u32_e32 v11, vcc, v4, v3, vcc
	v_add_u32_e32 v2, 1, v6
	v_mov_b32_e32 v3, v7
	v_lshlrev_b64 v[2:3], 2, v[2:3]
	v_add_co_u32_e32 v16, vcc, s12, v2
	v_add_u32_e32 v6, 2, v6
	v_addc_co_u32_e32 v17, vcc, v4, v3, vcc
	v_lshlrev_b64 v[2:3], 2, v[6:7]
	v_add_co_u32_e32 v18, vcc, s12, v2
	v_addc_co_u32_e32 v19, vcc, v4, v3, vcc
	global_load_dword v4, v[10:11], off
	global_load_dword v3, v[16:17], off
	global_load_dword v2, v[18:19], off
	s_or_b64 s[0:1], s[18:19], s[14:15]
	s_mov_b32 s17, s1
	s_cmp_lg_u64 s[16:17], 0
	s_cbranch_scc0 .LBB2_35
; %bb.25:                               ;   in Loop: Header=BB2_4 Depth=1
	s_sub_u32 s0, 0, s14
	v_readfirstlane_b32 s2, v12
	v_readfirstlane_b32 s20, v13
	s_subb_u32 s1, 0, s15
	s_mul_hi_u32 s17, s0, s2
	s_mul_i32 s22, s0, s20
	s_mul_i32 s3, s1, s2
	s_add_i32 s17, s17, s22
	s_add_i32 s17, s17, s3
	s_mul_i32 s24, s0, s2
	s_mul_hi_u32 s3, s2, s17
	s_mul_i32 s22, s2, s17
	s_mul_hi_u32 s2, s2, s24
	s_add_u32 s2, s2, s22
	s_addc_u32 s3, 0, s3
	s_mul_hi_u32 s25, s20, s24
	s_mul_i32 s24, s20, s24
	s_add_u32 s2, s2, s24
	s_mul_hi_u32 s22, s20, s17
	s_addc_u32 s2, s3, s25
	s_addc_u32 s3, s22, 0
	s_mul_i32 s17, s20, s17
	s_add_u32 s2, s2, s17
	s_addc_u32 s3, 0, s3
	v_add_co_u32_e32 v5, vcc, s2, v12
	s_cmp_lg_u64 vcc, 0
	s_addc_u32 s2, s20, s3
	v_readfirstlane_b32 s17, v5
	s_mul_i32 s3, s0, s2
	s_mul_hi_u32 s20, s0, s17
	s_add_i32 s3, s20, s3
	s_mul_i32 s1, s1, s17
	s_add_i32 s3, s3, s1
	s_mul_i32 s0, s0, s17
	s_mul_hi_u32 s20, s2, s0
	s_mul_i32 s22, s2, s0
	s_mul_i32 s25, s17, s3
	s_mul_hi_u32 s0, s17, s0
	s_mul_hi_u32 s24, s17, s3
	s_add_u32 s0, s0, s25
	s_addc_u32 s17, 0, s24
	s_add_u32 s0, s0, s22
	s_mul_hi_u32 s1, s2, s3
	s_addc_u32 s0, s17, s20
	s_addc_u32 s1, s1, 0
	s_mul_i32 s3, s2, s3
	s_add_u32 s0, s0, s3
	s_addc_u32 s1, 0, s1
	v_add_co_u32_e32 v5, vcc, s0, v5
	s_cmp_lg_u64 vcc, 0
	s_addc_u32 s0, s2, s1
	v_readfirstlane_b32 s3, v5
	s_mul_i32 s2, s18, s0
	s_mul_hi_u32 s17, s18, s3
	s_mul_hi_u32 s1, s18, s0
	s_add_u32 s2, s17, s2
	s_addc_u32 s1, 0, s1
	s_mul_hi_u32 s20, s19, s3
	s_mul_i32 s3, s19, s3
	s_add_u32 s2, s2, s3
	s_mul_hi_u32 s17, s19, s0
	s_addc_u32 s1, s1, s20
	s_addc_u32 s2, s17, 0
	s_mul_i32 s0, s19, s0
	s_add_u32 s0, s1, s0
	s_addc_u32 s1, 0, s2
	s_mul_i32 s1, s14, s1
	s_mul_hi_u32 s2, s14, s0
	s_add_i32 s1, s2, s1
	s_mul_i32 s2, s15, s0
	s_mul_i32 s0, s14, s0
	s_add_i32 s17, s1, s2
	v_mov_b32_e32 v5, s0
	s_sub_i32 s1, s19, s17
	v_sub_co_u32_e32 v5, vcc, s18, v5
	s_cmp_lg_u64 vcc, 0
	s_subb_u32 s20, s1, s15
	v_subrev_co_u32_e64 v6, s[0:1], s14, v5
	s_cmp_lg_u64 s[0:1], 0
	s_subb_u32 s22, s20, 0
	s_cmp_ge_u32 s22, s15
	s_cselect_b32 s24, -1, 0
	v_cmp_le_u32_e64 s[2:3], s14, v6
	s_cmp_eq_u32 s22, s15
	v_cndmask_b32_e64 v9, 0, -1, s[2:3]
	v_mov_b32_e32 v10, s24
	s_cselect_b64 s[2:3], -1, 0
	s_cmp_lg_u64 s[0:1], 0
	v_cndmask_b32_e64 v9, v10, v9, s[2:3]
	s_subb_u32 s2, s20, s15
	v_subrev_co_u32_e64 v10, s[0:1], s14, v6
	s_cmp_lg_u64 s[0:1], 0
	s_subb_u32 s2, s2, 0
	v_cmp_ne_u32_e64 s[0:1], 0, v9
	v_cndmask_b32_e64 v6, v6, v10, s[0:1]
	v_mov_b32_e32 v9, s22
	v_mov_b32_e32 v10, s2
	s_cmp_lg_u64 vcc, 0
	v_cndmask_b32_e64 v9, v9, v10, s[0:1]
	s_subb_u32 s0, s19, s17
	s_cmp_ge_u32 s0, s15
	s_cselect_b32 s1, -1, 0
	v_cmp_le_u32_e32 vcc, s14, v5
	s_cmp_eq_u32 s0, s15
	v_cndmask_b32_e64 v10, 0, -1, vcc
	v_mov_b32_e32 v11, s1
	s_cselect_b64 vcc, -1, 0
	v_cndmask_b32_e32 v10, v11, v10, vcc
	v_mov_b32_e32 v11, s0
	v_cmp_ne_u32_e32 vcc, 0, v10
	v_cndmask_b32_e32 v11, v11, v9, vcc
	v_cndmask_b32_e32 v10, v5, v6, vcc
	s_cbranch_execnz .LBB2_27
.LBB2_26:                               ;   in Loop: Header=BB2_4 Depth=1
	v_readfirstlane_b32 s0, v14
	s_mul_i32 s1, s7, s0
	s_mul_hi_u32 s1, s0, s1
	s_add_i32 s0, s0, s1
	s_mul_hi_u32 s0, s18, s0
	s_mul_i32 s0, s0, s14
	s_sub_i32 s0, s18, s0
	s_sub_i32 s1, s0, s14
	s_cmp_ge_u32 s0, s14
	s_cselect_b32 s0, s1, s0
	s_sub_i32 s1, s0, s14
	s_cmp_ge_u32 s0, s14
	s_cselect_b32 s0, s1, s0
	s_mov_b32 s1, s16
	v_pk_mov_b32 v[10:11], s[0:1], s[0:1] op_sel:[0,1]
.LBB2_27:                               ;   in Loop: Header=BB2_4 Depth=1
	v_lshlrev_b64 v[10:11], 2, v[10:11]
	v_mov_b32_e32 v5, s13
	v_add_co_u32_e32 v10, vcc, s12, v10
	v_addc_co_u32_e32 v11, vcc, v5, v11, vcc
	global_load_dword v6, v[10:11], off
	v_mov_b32_e32 v5, v8
	s_waitcnt vmcnt(0)
	v_readfirstlane_b32 s0, v6
	s_bitcmp0_b32 s0, 0
	s_cselect_b32 s1, s9, s21
	s_cselect_b32 s0, s8, 0
	s_cmp_eq_u32 s1, s21
	s_cselect_b64 s[2:3], -1, 0
	s_andn2_b64 vcc, exec, s[2:3]
	s_mov_b64 s[2:3], -1
	s_cbranch_vccz .LBB2_33
; %bb.28:                               ;   in Loop: Header=BB2_4 Depth=1
	s_cmp_eq_u32 s1, s23
	s_cselect_b64 s[2:3], -1, 0
	s_andn2_b64 vcc, exec, s[2:3]
	s_mov_b64 s[2:3], -1
	s_cbranch_vccz .LBB2_30
; %bb.29:                               ;   in Loop: Header=BB2_4 Depth=1
	v_pk_mov_b32 v[8:9], s[0:1], s[0:1] op_sel:[0,1]
	;;#ASMSTART
	global_store_dwordx4 v[8:9], v[2:5] off	
s_waitcnt vmcnt(0)
	;;#ASMEND
	s_mov_b64 s[2:3], 0
.LBB2_30:                               ;   in Loop: Header=BB2_4 Depth=1
	s_andn2_b64 vcc, exec, s[2:3]
	s_cbranch_vccnz .LBB2_32
; %bb.31:                               ;   in Loop: Header=BB2_4 Depth=1
	v_pk_mov_b32 v[8:9], s[0:1], s[0:1] op_sel:[0,1]
	;;#ASMSTART
	flat_store_dwordx4 v[8:9], v[2:5] 	
s_waitcnt vmcnt(0)
	;;#ASMEND
.LBB2_32:                               ;   in Loop: Header=BB2_4 Depth=1
	s_mov_b64 s[2:3], 0
.LBB2_33:                               ;   in Loop: Header=BB2_4 Depth=1
	s_andn2_b64 vcc, exec, s[2:3]
	s_cbranch_vccnz .LBB2_3
; %bb.34:                               ;   in Loop: Header=BB2_4 Depth=1
	s_cmp_lg_u64 s[0:1], 0
	s_cselect_b32 s0, s0, -1
	v_mov_b32_e32 v6, s0
	;;#ASMSTART
	ds_write_b128 v6, v[2:5] 	
s_waitcnt lgkmcnt(0)
	;;#ASMEND
	s_branch .LBB2_3
.LBB2_35:                               ;   in Loop: Header=BB2_4 Depth=1
                                        ; implicit-def: $vgpr10_vgpr11
	s_branch .LBB2_26
.LBB2_36:
	s_endpgm
	.section	.rodata,"a",@progbits
	.p2align	6, 0x0
	.amdhsa_kernel _Z9test_flatPoPbPKjm
		.amdhsa_group_segment_fixed_size 16
		.amdhsa_private_segment_fixed_size 0
		.amdhsa_kernarg_size 288
		.amdhsa_user_sgpr_count 6
		.amdhsa_user_sgpr_private_segment_buffer 1
		.amdhsa_user_sgpr_dispatch_ptr 0
		.amdhsa_user_sgpr_queue_ptr 0
		.amdhsa_user_sgpr_kernarg_segment_ptr 1
		.amdhsa_user_sgpr_dispatch_id 0
		.amdhsa_user_sgpr_flat_scratch_init 0
		.amdhsa_user_sgpr_kernarg_preload_length 0
		.amdhsa_user_sgpr_kernarg_preload_offset 0
		.amdhsa_user_sgpr_private_segment_size 0
		.amdhsa_uses_dynamic_stack 0
		.amdhsa_system_sgpr_private_segment_wavefront_offset 0
		.amdhsa_system_sgpr_workgroup_id_x 1
		.amdhsa_system_sgpr_workgroup_id_y 0
		.amdhsa_system_sgpr_workgroup_id_z 0
		.amdhsa_system_sgpr_workgroup_info 0
		.amdhsa_system_vgpr_workitem_id 0
		.amdhsa_next_free_vgpr 20
		.amdhsa_next_free_sgpr 30
		.amdhsa_accum_offset 20
		.amdhsa_reserve_vcc 1
		.amdhsa_reserve_flat_scratch 0
		.amdhsa_float_round_mode_32 0
		.amdhsa_float_round_mode_16_64 0
		.amdhsa_float_denorm_mode_32 3
		.amdhsa_float_denorm_mode_16_64 3
		.amdhsa_dx10_clamp 1
		.amdhsa_ieee_mode 1
		.amdhsa_fp16_overflow 0
		.amdhsa_tg_split 0
		.amdhsa_exception_fp_ieee_invalid_op 0
		.amdhsa_exception_fp_denorm_src 0
		.amdhsa_exception_fp_ieee_div_zero 0
		.amdhsa_exception_fp_ieee_overflow 0
		.amdhsa_exception_fp_ieee_underflow 0
		.amdhsa_exception_fp_ieee_inexact 0
		.amdhsa_exception_int_div_zero 0
	.end_amdhsa_kernel
	.text
.Lfunc_end2:
	.size	_Z9test_flatPoPbPKjm, .Lfunc_end2-_Z9test_flatPoPbPKjm
                                        ; -- End function
	.section	.AMDGPU.csdata,"",@progbits
; Kernel info:
; codeLenInByte = 2132
; NumSgprs: 34
; NumVgprs: 20
; NumAgprs: 0
; TotalNumVgprs: 20
; ScratchSize: 0
; MemoryBound: 0
; FloatMode: 240
; IeeeMode: 1
; LDSByteSize: 16 bytes/workgroup (compile time only)
; SGPRBlocks: 4
; VGPRBlocks: 2
; NumSGPRsForWavesPerEU: 34
; NumVGPRsForWavesPerEU: 20
; AccumOffset: 20
; Occupancy: 8
; WaveLimiterHint : 0
; COMPUTE_PGM_RSRC2:SCRATCH_EN: 0
; COMPUTE_PGM_RSRC2:USER_SGPR: 6
; COMPUTE_PGM_RSRC2:TRAP_HANDLER: 0
; COMPUTE_PGM_RSRC2:TGID_X_EN: 1
; COMPUTE_PGM_RSRC2:TGID_Y_EN: 0
; COMPUTE_PGM_RSRC2:TGID_Z_EN: 0
; COMPUTE_PGM_RSRC2:TIDIG_COMP_CNT: 0
; COMPUTE_PGM_RSRC3_GFX90A:ACCUM_OFFSET: 4
; COMPUTE_PGM_RSRC3_GFX90A:TG_SPLIT: 0
	.text
	.p2alignl 6, 3212836864
	.fill 256, 4, 3212836864
	.type	__hip_cuid_e5c17ca01ab739e0,@object ; @__hip_cuid_e5c17ca01ab739e0
	.section	.bss,"aw",@nobits
	.globl	__hip_cuid_e5c17ca01ab739e0
__hip_cuid_e5c17ca01ab739e0:
	.byte	0                               ; 0x0
	.size	__hip_cuid_e5c17ca01ab739e0, 1

	.ident	"AMD clang version 19.0.0git (https://github.com/RadeonOpenCompute/llvm-project roc-6.4.0 25133 c7fe45cf4b819c5991fe208aaa96edf142730f1d)"
	.section	".note.GNU-stack","",@progbits
	.addrsig
	.addrsig_sym __hip_cuid_e5c17ca01ab739e0
	.amdgpu_metadata
---
amdhsa.kernels:
  - .agpr_count:     0
    .args:
      - .address_space:  global
        .offset:         0
        .size:           8
        .value_kind:     global_buffer
      - .address_space:  global
        .offset:         8
        .size:           8
        .value_kind:     global_buffer
      - .address_space:  global
        .offset:         16
        .size:           8
        .value_kind:     global_buffer
      - .offset:         24
        .size:           8
        .value_kind:     by_value
      - .offset:         32
        .size:           4
        .value_kind:     hidden_block_count_x
      - .offset:         36
        .size:           4
        .value_kind:     hidden_block_count_y
      - .offset:         40
        .size:           4
        .value_kind:     hidden_block_count_z
      - .offset:         44
        .size:           2
        .value_kind:     hidden_group_size_x
      - .offset:         46
        .size:           2
        .value_kind:     hidden_group_size_y
      - .offset:         48
        .size:           2
        .value_kind:     hidden_group_size_z
      - .offset:         50
        .size:           2
        .value_kind:     hidden_remainder_x
      - .offset:         52
        .size:           2
        .value_kind:     hidden_remainder_y
      - .offset:         54
        .size:           2
        .value_kind:     hidden_remainder_z
      - .offset:         72
        .size:           8
        .value_kind:     hidden_global_offset_x
      - .offset:         80
        .size:           8
        .value_kind:     hidden_global_offset_y
      - .offset:         88
        .size:           8
        .value_kind:     hidden_global_offset_z
      - .offset:         96
        .size:           2
        .value_kind:     hidden_grid_dims
    .group_segment_fixed_size: 0
    .kernarg_segment_align: 8
    .kernarg_segment_size: 288
    .language:       OpenCL C
    .language_version:
      - 2
      - 0
    .max_flat_workgroup_size: 1024
    .name:           _Z11test_globalPoPbPKjm
    .private_segment_fixed_size: 0
    .sgpr_count:     24
    .sgpr_spill_count: 0
    .symbol:         _Z11test_globalPoPbPKjm.kd
    .uniform_work_group_size: 1
    .uses_dynamic_stack: false
    .vgpr_count:     20
    .vgpr_spill_count: 0
    .wavefront_size: 64
  - .agpr_count:     0
    .args:
      - .address_space:  global
        .offset:         0
        .size:           8
        .value_kind:     global_buffer
      - .address_space:  global
        .offset:         8
        .size:           8
        .value_kind:     global_buffer
      - .offset:         16
        .size:           8
        .value_kind:     by_value
      - .offset:         24
        .size:           4
        .value_kind:     hidden_block_count_x
      - .offset:         28
        .size:           4
        .value_kind:     hidden_block_count_y
      - .offset:         32
        .size:           4
        .value_kind:     hidden_block_count_z
      - .offset:         36
        .size:           2
        .value_kind:     hidden_group_size_x
      - .offset:         38
        .size:           2
        .value_kind:     hidden_group_size_y
      - .offset:         40
        .size:           2
        .value_kind:     hidden_group_size_z
      - .offset:         42
        .size:           2
        .value_kind:     hidden_remainder_x
      - .offset:         44
        .size:           2
        .value_kind:     hidden_remainder_y
      - .offset:         46
        .size:           2
        .value_kind:     hidden_remainder_z
      - .offset:         64
        .size:           8
        .value_kind:     hidden_global_offset_x
      - .offset:         72
        .size:           8
        .value_kind:     hidden_global_offset_y
      - .offset:         80
        .size:           8
        .value_kind:     hidden_global_offset_z
      - .offset:         88
        .size:           2
        .value_kind:     hidden_grid_dims
    .group_segment_fixed_size: 16
    .kernarg_segment_align: 8
    .kernarg_segment_size: 280
    .language:       OpenCL C
    .language_version:
      - 2
      - 0
    .max_flat_workgroup_size: 1024
    .name:           _Z11test_sharedPbPKjm
    .private_segment_fixed_size: 0
    .sgpr_count:     24
    .sgpr_spill_count: 0
    .symbol:         _Z11test_sharedPbPKjm.kd
    .uniform_work_group_size: 1
    .uses_dynamic_stack: false
    .vgpr_count:     18
    .vgpr_spill_count: 0
    .wavefront_size: 64
  - .agpr_count:     0
    .args:
      - .address_space:  global
        .offset:         0
        .size:           8
        .value_kind:     global_buffer
      - .address_space:  global
        .offset:         8
        .size:           8
        .value_kind:     global_buffer
      - .address_space:  global
        .offset:         16
        .size:           8
        .value_kind:     global_buffer
      - .offset:         24
        .size:           8
        .value_kind:     by_value
      - .offset:         32
        .size:           4
        .value_kind:     hidden_block_count_x
      - .offset:         36
        .size:           4
        .value_kind:     hidden_block_count_y
      - .offset:         40
        .size:           4
        .value_kind:     hidden_block_count_z
      - .offset:         44
        .size:           2
        .value_kind:     hidden_group_size_x
      - .offset:         46
        .size:           2
        .value_kind:     hidden_group_size_y
      - .offset:         48
        .size:           2
        .value_kind:     hidden_group_size_z
      - .offset:         50
        .size:           2
        .value_kind:     hidden_remainder_x
      - .offset:         52
        .size:           2
        .value_kind:     hidden_remainder_y
      - .offset:         54
        .size:           2
        .value_kind:     hidden_remainder_z
      - .offset:         72
        .size:           8
        .value_kind:     hidden_global_offset_x
      - .offset:         80
        .size:           8
        .value_kind:     hidden_global_offset_y
      - .offset:         88
        .size:           8
        .value_kind:     hidden_global_offset_z
      - .offset:         96
        .size:           2
        .value_kind:     hidden_grid_dims
    .group_segment_fixed_size: 16
    .kernarg_segment_align: 8
    .kernarg_segment_size: 288
    .language:       OpenCL C
    .language_version:
      - 2
      - 0
    .max_flat_workgroup_size: 1024
    .name:           _Z9test_flatPoPbPKjm
    .private_segment_fixed_size: 0
    .sgpr_count:     34
    .sgpr_spill_count: 0
    .symbol:         _Z9test_flatPoPbPKjm.kd
    .uniform_work_group_size: 1
    .uses_dynamic_stack: false
    .vgpr_count:     20
    .vgpr_spill_count: 0
    .wavefront_size: 64
amdhsa.target:   amdgcn-amd-amdhsa--gfx90a
amdhsa.version:
  - 1
  - 2
...

	.end_amdgpu_metadata
